;; amdgpu-corpus repo=ROCm/rocSPARSE kind=compiled arch=gfx1100 opt=O3
	.text
	.amdgcn_target "amdgcn-amd-amdhsa--gfx1100"
	.amdhsa_code_object_version 6
	.section	.text._ZN9rocsparseL13gemmit_kernelILj256EfEEviiNS_24const_host_device_scalarIT0_EEPKS2_iPKiS7_S5_S3_PS2_i21rocsparse_index_base_b,"axG",@progbits,_ZN9rocsparseL13gemmit_kernelILj256EfEEviiNS_24const_host_device_scalarIT0_EEPKS2_iPKiS7_S5_S3_PS2_i21rocsparse_index_base_b,comdat
	.globl	_ZN9rocsparseL13gemmit_kernelILj256EfEEviiNS_24const_host_device_scalarIT0_EEPKS2_iPKiS7_S5_S3_PS2_i21rocsparse_index_base_b ; -- Begin function _ZN9rocsparseL13gemmit_kernelILj256EfEEviiNS_24const_host_device_scalarIT0_EEPKS2_iPKiS7_S5_S3_PS2_i21rocsparse_index_base_b
	.p2align	8
	.type	_ZN9rocsparseL13gemmit_kernelILj256EfEEviiNS_24const_host_device_scalarIT0_EEPKS2_iPKiS7_S5_S3_PS2_i21rocsparse_index_base_b,@function
_ZN9rocsparseL13gemmit_kernelILj256EfEEviiNS_24const_host_device_scalarIT0_EEPKS2_iPKiS7_S5_S3_PS2_i21rocsparse_index_base_b: ; @_ZN9rocsparseL13gemmit_kernelILj256EfEEviiNS_24const_host_device_scalarIT0_EEPKS2_iPKiS7_S5_S3_PS2_i21rocsparse_index_base_b
; %bb.0:
	s_clause 0x2
	s_load_b128 s[4:7], s[0:1], 0x48
	s_load_b64 s[2:3], s[0:1], 0x8
	s_load_b64 s[12:13], s[0:1], 0x38
	s_waitcnt lgkmcnt(0)
	s_bitcmp1_b32 s6, 0
	s_cselect_b32 s6, -1, 0
	s_delay_alu instid0(SALU_CYCLE_1)
	s_and_b32 vcc_lo, exec_lo, s6
	s_xor_b32 s6, s6, -1
	s_cbranch_vccnz .LBB0_2
; %bb.1:
	s_load_b32 s2, s[2:3], 0x0
.LBB0_2:
	s_and_not1_b32 vcc_lo, exec_lo, s6
	s_cbranch_vccnz .LBB0_4
; %bb.3:
	s_load_b32 s12, s[12:13], 0x0
.LBB0_4:
	s_load_b64 s[6:7], s[0:1], 0x0
	v_lshl_or_b32 v0, s14, 8, v0
	s_mov_b32 s3, 0
	s_waitcnt lgkmcnt(0)
	s_delay_alu instid0(VALU_DEP_1) | instskip(SKIP_2) | instid1(SALU_CYCLE_1)
	v_cmp_gt_i32_e32 vcc_lo, s6, v0
	s_cmp_gt_i32 s7, 0
	s_cselect_b32 s6, -1, 0
	s_and_b32 s6, vcc_lo, s6
	s_delay_alu instid0(SALU_CYCLE_1)
	s_and_saveexec_b32 s8, s6
	s_cbranch_execz .LBB0_15
; %bb.5:
	s_clause 0x1
	s_load_b64 s[18:19], s[0:1], 0x10
	s_load_b64 s[20:21], s[0:1], 0x40
	v_ashrrev_i32_e32 v1, 31, v0
	s_clause 0x2
	s_load_b128 s[8:11], s[0:1], 0x20
	s_load_b64 s[16:17], s[0:1], 0x30
	s_load_b32 s6, s[0:1], 0x18
	v_cmp_eq_f32_e64 s13, s12, 0
	v_lshlrev_b64 v[2:3], 2, v[0:1]
	s_waitcnt lgkmcnt(0)
	s_delay_alu instid0(VALU_DEP_1) | instskip(NEXT) | instid1(VALU_DEP_2)
	v_add_co_u32 v0, vcc_lo, s18, v2
	v_add_co_ci_u32_e32 v1, vcc_lo, s19, v3, vcc_lo
	v_add_co_u32 v2, vcc_lo, s20, v2
	v_add_co_ci_u32_e32 v3, vcc_lo, s21, v3, vcc_lo
	s_branch .LBB0_7
.LBB0_6:                                ;   in Loop: Header=BB0_7 Depth=1
	s_add_i32 s3, s3, 0xffff
	s_delay_alu instid0(SALU_CYCLE_1)
	s_cmp_lt_i32 s3, s7
	s_cbranch_scc0 .LBB0_15
.LBB0_7:                                ; =>This Loop Header: Depth=1
                                        ;     Child Loop BB0_10 Depth 2
	s_add_i32 s0, s3, s15
	s_delay_alu instid0(SALU_CYCLE_1)
	s_cmp_ge_i32 s0, s7
	s_cbranch_scc1 .LBB0_6
; %bb.8:                                ;   in Loop: Header=BB0_7 Depth=1
	s_ashr_i32 s1, s0, 31
	v_mov_b32_e32 v4, 0
	s_lshl_b64 s[18:19], s[0:1], 2
	s_delay_alu instid0(SALU_CYCLE_1)
	s_add_u32 s18, s8, s18
	s_addc_u32 s19, s9, s19
	s_load_b64 s[20:21], s[18:19], 0x0
	s_waitcnt lgkmcnt(0)
	s_cmp_ge_i32 s20, s21
	s_cbranch_scc1 .LBB0_11
; %bb.9:                                ;   in Loop: Header=BB0_7 Depth=1
	s_sub_i32 s18, s20, s5
	s_sub_i32 s1, s21, s5
	s_ashr_i32 s19, s18, 31
	v_mov_b32_e32 v4, 0
	s_lshl_b64 s[22:23], s[18:19], 2
	s_delay_alu instid0(SALU_CYCLE_1)
	s_add_u32 s20, s10, s22
	s_addc_u32 s21, s11, s23
	s_add_u32 s22, s16, s22
	s_addc_u32 s23, s17, s23
	.p2align	6
.LBB0_10:                               ;   Parent Loop BB0_7 Depth=1
                                        ; =>  This Inner Loop Header: Depth=2
	s_load_b32 s14, s[20:21], 0x0
	s_add_i32 s18, s18, 1
	s_waitcnt lgkmcnt(0)
	s_sub_i32 s14, s14, s5
	s_delay_alu instid0(SALU_CYCLE_1)
	s_mul_hi_i32 s25, s14, s6
	s_mul_i32 s24, s14, s6
	s_load_b32 s14, s[22:23], 0x0
	s_lshl_b64 s[24:25], s[24:25], 2
	s_add_u32 s20, s20, 4
	v_add_co_u32 v5, vcc_lo, v0, s24
	v_add_co_ci_u32_e32 v6, vcc_lo, s25, v1, vcc_lo
	s_addc_u32 s21, s21, 0
	s_add_u32 s22, s22, 4
	s_addc_u32 s23, s23, 0
	global_load_b32 v5, v[5:6], off
	s_cmp_ge_i32 s18, s1
	s_waitcnt vmcnt(0) lgkmcnt(0)
	v_fmac_f32_e32 v4, s14, v5
	s_cbranch_scc0 .LBB0_10
.LBB0_11:                               ;   in Loop: Header=BB0_7 Depth=1
	s_delay_alu instid0(VALU_DEP_1)
	v_mul_f32_e32 v4, s2, v4
	s_and_b32 vcc_lo, exec_lo, s13
	s_mul_hi_i32 s1, s0, s4
	s_mul_i32 s0, s0, s4
	s_cbranch_vccz .LBB0_13
; %bb.12:                               ;   in Loop: Header=BB0_7 Depth=1
	s_lshl_b64 s[18:19], s[0:1], 2
	s_delay_alu instid0(SALU_CYCLE_1)
	v_add_co_u32 v5, vcc_lo, v2, s18
	v_add_co_ci_u32_e32 v6, vcc_lo, s19, v3, vcc_lo
	global_store_b32 v[5:6], v4, off
	s_cbranch_execnz .LBB0_6
	s_branch .LBB0_14
.LBB0_13:                               ;   in Loop: Header=BB0_7 Depth=1
.LBB0_14:                               ;   in Loop: Header=BB0_7 Depth=1
	s_lshl_b64 s[0:1], s[0:1], 2
	s_delay_alu instid0(SALU_CYCLE_1)
	v_add_co_u32 v5, vcc_lo, v2, s0
	v_add_co_ci_u32_e32 v6, vcc_lo, s1, v3, vcc_lo
	global_load_b32 v7, v[5:6], off
	s_waitcnt vmcnt(0)
	v_fmac_f32_e32 v4, s12, v7
	global_store_b32 v[5:6], v4, off
	s_branch .LBB0_6
.LBB0_15:
	s_nop 0
	s_sendmsg sendmsg(MSG_DEALLOC_VGPRS)
	s_endpgm
	.section	.rodata,"a",@progbits
	.p2align	6, 0x0
	.amdhsa_kernel _ZN9rocsparseL13gemmit_kernelILj256EfEEviiNS_24const_host_device_scalarIT0_EEPKS2_iPKiS7_S5_S3_PS2_i21rocsparse_index_base_b
		.amdhsa_group_segment_fixed_size 0
		.amdhsa_private_segment_fixed_size 0
		.amdhsa_kernarg_size 84
		.amdhsa_user_sgpr_count 14
		.amdhsa_user_sgpr_dispatch_ptr 0
		.amdhsa_user_sgpr_queue_ptr 0
		.amdhsa_user_sgpr_kernarg_segment_ptr 1
		.amdhsa_user_sgpr_dispatch_id 0
		.amdhsa_user_sgpr_private_segment_size 0
		.amdhsa_wavefront_size32 1
		.amdhsa_uses_dynamic_stack 0
		.amdhsa_enable_private_segment 0
		.amdhsa_system_sgpr_workgroup_id_x 1
		.amdhsa_system_sgpr_workgroup_id_y 1
		.amdhsa_system_sgpr_workgroup_id_z 0
		.amdhsa_system_sgpr_workgroup_info 0
		.amdhsa_system_vgpr_workitem_id 0
		.amdhsa_next_free_vgpr 8
		.amdhsa_next_free_sgpr 26
		.amdhsa_reserve_vcc 1
		.amdhsa_float_round_mode_32 0
		.amdhsa_float_round_mode_16_64 0
		.amdhsa_float_denorm_mode_32 3
		.amdhsa_float_denorm_mode_16_64 3
		.amdhsa_dx10_clamp 1
		.amdhsa_ieee_mode 1
		.amdhsa_fp16_overflow 0
		.amdhsa_workgroup_processor_mode 1
		.amdhsa_memory_ordered 1
		.amdhsa_forward_progress 0
		.amdhsa_shared_vgpr_count 0
		.amdhsa_exception_fp_ieee_invalid_op 0
		.amdhsa_exception_fp_denorm_src 0
		.amdhsa_exception_fp_ieee_div_zero 0
		.amdhsa_exception_fp_ieee_overflow 0
		.amdhsa_exception_fp_ieee_underflow 0
		.amdhsa_exception_fp_ieee_inexact 0
		.amdhsa_exception_int_div_zero 0
	.end_amdhsa_kernel
	.section	.text._ZN9rocsparseL13gemmit_kernelILj256EfEEviiNS_24const_host_device_scalarIT0_EEPKS2_iPKiS7_S5_S3_PS2_i21rocsparse_index_base_b,"axG",@progbits,_ZN9rocsparseL13gemmit_kernelILj256EfEEviiNS_24const_host_device_scalarIT0_EEPKS2_iPKiS7_S5_S3_PS2_i21rocsparse_index_base_b,comdat
.Lfunc_end0:
	.size	_ZN9rocsparseL13gemmit_kernelILj256EfEEviiNS_24const_host_device_scalarIT0_EEPKS2_iPKiS7_S5_S3_PS2_i21rocsparse_index_base_b, .Lfunc_end0-_ZN9rocsparseL13gemmit_kernelILj256EfEEviiNS_24const_host_device_scalarIT0_EEPKS2_iPKiS7_S5_S3_PS2_i21rocsparse_index_base_b
                                        ; -- End function
	.section	.AMDGPU.csdata,"",@progbits
; Kernel info:
; codeLenInByte = 576
; NumSgprs: 28
; NumVgprs: 8
; ScratchSize: 0
; MemoryBound: 0
; FloatMode: 240
; IeeeMode: 1
; LDSByteSize: 0 bytes/workgroup (compile time only)
; SGPRBlocks: 3
; VGPRBlocks: 0
; NumSGPRsForWavesPerEU: 28
; NumVGPRsForWavesPerEU: 8
; Occupancy: 16
; WaveLimiterHint : 1
; COMPUTE_PGM_RSRC2:SCRATCH_EN: 0
; COMPUTE_PGM_RSRC2:USER_SGPR: 14
; COMPUTE_PGM_RSRC2:TRAP_HANDLER: 0
; COMPUTE_PGM_RSRC2:TGID_X_EN: 1
; COMPUTE_PGM_RSRC2:TGID_Y_EN: 1
; COMPUTE_PGM_RSRC2:TGID_Z_EN: 0
; COMPUTE_PGM_RSRC2:TIDIG_COMP_CNT: 0
	.section	.text._ZN9rocsparseL13gemmit_kernelILj256EdEEviiNS_24const_host_device_scalarIT0_EEPKS2_iPKiS7_S5_S3_PS2_i21rocsparse_index_base_b,"axG",@progbits,_ZN9rocsparseL13gemmit_kernelILj256EdEEviiNS_24const_host_device_scalarIT0_EEPKS2_iPKiS7_S5_S3_PS2_i21rocsparse_index_base_b,comdat
	.globl	_ZN9rocsparseL13gemmit_kernelILj256EdEEviiNS_24const_host_device_scalarIT0_EEPKS2_iPKiS7_S5_S3_PS2_i21rocsparse_index_base_b ; -- Begin function _ZN9rocsparseL13gemmit_kernelILj256EdEEviiNS_24const_host_device_scalarIT0_EEPKS2_iPKiS7_S5_S3_PS2_i21rocsparse_index_base_b
	.p2align	8
	.type	_ZN9rocsparseL13gemmit_kernelILj256EdEEviiNS_24const_host_device_scalarIT0_EEPKS2_iPKiS7_S5_S3_PS2_i21rocsparse_index_base_b,@function
_ZN9rocsparseL13gemmit_kernelILj256EdEEviiNS_24const_host_device_scalarIT0_EEPKS2_iPKiS7_S5_S3_PS2_i21rocsparse_index_base_b: ; @_ZN9rocsparseL13gemmit_kernelILj256EdEEviiNS_24const_host_device_scalarIT0_EEPKS2_iPKiS7_S5_S3_PS2_i21rocsparse_index_base_b
; %bb.0:
	s_clause 0x2
	s_load_b128 s[4:7], s[0:1], 0x48
	s_load_b64 s[8:9], s[0:1], 0x8
	s_load_b64 s[2:3], s[0:1], 0x38
	s_waitcnt lgkmcnt(0)
	s_bitcmp1_b32 s6, 0
	v_dual_mov_b32 v1, s8 :: v_dual_mov_b32 v2, s9
	s_cselect_b32 s6, -1, 0
	s_delay_alu instid0(SALU_CYCLE_1)
	s_and_b32 vcc_lo, exec_lo, s6
	s_xor_b32 s6, s6, -1
	s_cbranch_vccnz .LBB1_2
; %bb.1:
	v_dual_mov_b32 v1, s8 :: v_dual_mov_b32 v2, s9
	flat_load_b64 v[1:2], v[1:2]
.LBB1_2:
	v_dual_mov_b32 v4, s3 :: v_dual_mov_b32 v3, s2
	s_and_not1_b32 vcc_lo, exec_lo, s6
	s_cbranch_vccnz .LBB1_4
; %bb.3:
	v_dual_mov_b32 v4, s3 :: v_dual_mov_b32 v3, s2
	flat_load_b64 v[3:4], v[3:4]
.LBB1_4:
	s_load_b64 s[2:3], s[0:1], 0x0
	v_lshl_or_b32 v5, s14, 8, v0
	s_waitcnt lgkmcnt(0)
	s_delay_alu instid0(VALU_DEP_1) | instskip(SKIP_3) | instid1(SALU_CYCLE_1)
	v_cmp_gt_i32_e32 vcc_lo, s2, v5
	s_cmp_gt_i32 s3, 0
	s_mov_b32 s2, 0
	s_cselect_b32 s6, -1, 0
	s_and_b32 s6, vcc_lo, s6
	s_delay_alu instid0(SALU_CYCLE_1)
	s_and_saveexec_b32 s7, s6
	s_cbranch_execz .LBB1_16
; %bb.5:
	s_waitcnt vmcnt(0)
	v_cmp_eq_f64_e32 vcc_lo, 0, v[3:4]
	s_clause 0x1
	s_load_b64 s[12:13], s[0:1], 0x10
	s_load_b64 s[16:17], s[0:1], 0x40
	v_ashrrev_i32_e32 v6, 31, v5
	s_clause 0x2
	s_load_b128 s[8:11], s[0:1], 0x20
	s_load_b64 s[6:7], s[0:1], 0x30
	s_load_b32 s14, s[0:1], 0x18
	v_lshlrev_b64 v[5:6], 3, v[5:6]
	s_waitcnt lgkmcnt(0)
	s_delay_alu instid0(VALU_DEP_1) | instskip(NEXT) | instid1(VALU_DEP_1)
	v_add_co_u32 v0, s0, s12, v5
	v_add_co_ci_u32_e64 v7, s0, s13, v6, s0
	v_add_co_u32 v8, s0, s16, v5
	s_delay_alu instid0(VALU_DEP_1)
	v_add_co_ci_u32_e64 v9, s0, s17, v6, s0
	s_branch .LBB1_8
.LBB1_6:                                ;   in Loop: Header=BB1_8 Depth=1
	s_or_b32 exec_lo, exec_lo, s1
.LBB1_7:                                ;   in Loop: Header=BB1_8 Depth=1
	s_add_i32 s2, s2, 0xffff
	s_delay_alu instid0(SALU_CYCLE_1)
	s_cmp_lt_i32 s2, s3
	s_cbranch_scc0 .LBB1_16
.LBB1_8:                                ; =>This Loop Header: Depth=1
                                        ;     Child Loop BB1_11 Depth 2
	s_add_i32 s12, s2, s15
	s_delay_alu instid0(SALU_CYCLE_1)
	s_cmp_ge_i32 s12, s3
	s_cbranch_scc1 .LBB1_7
; %bb.9:                                ;   in Loop: Header=BB1_8 Depth=1
	s_ashr_i32 s13, s12, 31
	v_mov_b32_e32 v5, 0
	s_lshl_b64 s[0:1], s[12:13], 2
	v_mov_b32_e32 v6, 0
	s_add_u32 s0, s8, s0
	s_addc_u32 s1, s9, s1
	s_load_b64 s[0:1], s[0:1], 0x0
	s_waitcnt lgkmcnt(0)
	s_cmp_ge_i32 s0, s1
	s_cbranch_scc1 .LBB1_12
; %bb.10:                               ;   in Loop: Header=BB1_8 Depth=1
	s_sub_i32 s16, s0, s5
	s_sub_i32 s1, s1, s5
	s_ashr_i32 s17, s16, 31
	v_mov_b32_e32 v5, 0
	s_lshl_b64 s[18:19], s[16:17], 2
	v_mov_b32_e32 v6, 0
	s_add_u32 s18, s10, s18
	s_addc_u32 s19, s11, s19
	s_lshl_b64 s[20:21], s[16:17], 3
	s_delay_alu instid0(SALU_CYCLE_1)
	s_add_u32 s20, s6, s20
	s_addc_u32 s21, s7, s21
	.p2align	6
.LBB1_11:                               ;   Parent Loop BB1_8 Depth=1
                                        ; =>  This Inner Loop Header: Depth=2
	s_load_b32 s0, s[18:19], 0x0
	s_add_i32 s16, s16, 1
	s_waitcnt lgkmcnt(0)
	s_sub_i32 s0, s0, s5
	s_delay_alu instid0(SALU_CYCLE_1) | instskip(SKIP_1) | instid1(SALU_CYCLE_1)
	s_mul_hi_i32 s23, s0, s14
	s_mul_i32 s22, s0, s14
	s_lshl_b64 s[22:23], s[22:23], 3
	s_add_u32 s18, s18, 4
	v_add_co_u32 v10, s0, v0, s22
	s_delay_alu instid0(VALU_DEP_1)
	v_add_co_ci_u32_e64 v11, s0, s23, v7, s0
	s_load_b64 s[22:23], s[20:21], 0x0
	s_addc_u32 s19, s19, 0
	s_add_u32 s20, s20, 8
	global_load_b64 v[10:11], v[10:11], off
	s_addc_u32 s21, s21, 0
	s_cmp_ge_i32 s16, s1
	s_waitcnt vmcnt(0) lgkmcnt(0)
	v_fma_f64 v[5:6], v[10:11], s[22:23], v[5:6]
	s_cbranch_scc0 .LBB1_11
.LBB1_12:                               ;   in Loop: Header=BB1_8 Depth=1
	s_delay_alu instid0(VALU_DEP_1) | instskip(SKIP_3) | instid1(SALU_CYCLE_1)
	v_mul_f64 v[5:6], v[1:2], v[5:6]
	s_mul_hi_i32 s13, s12, s4
	s_mul_i32 s12, s12, s4
	s_and_saveexec_b32 s0, vcc_lo
	s_xor_b32 s1, exec_lo, s0
	s_cbranch_execz .LBB1_14
; %bb.13:                               ;   in Loop: Header=BB1_8 Depth=1
	s_lshl_b64 s[16:17], s[12:13], 3
	s_delay_alu instid0(SALU_CYCLE_1) | instskip(NEXT) | instid1(VALU_DEP_1)
	v_add_co_u32 v10, s0, v8, s16
	v_add_co_ci_u32_e64 v11, s0, s17, v9, s0
	global_store_b64 v[10:11], v[5:6], off
                                        ; implicit-def: $vgpr5_vgpr6
.LBB1_14:                               ;   in Loop: Header=BB1_8 Depth=1
	s_and_not1_saveexec_b32 s1, s1
	s_cbranch_execz .LBB1_6
; %bb.15:                               ;   in Loop: Header=BB1_8 Depth=1
	s_lshl_b64 s[12:13], s[12:13], 3
	s_delay_alu instid0(SALU_CYCLE_1) | instskip(NEXT) | instid1(VALU_DEP_1)
	v_add_co_u32 v10, s0, v8, s12
	v_add_co_ci_u32_e64 v11, s0, s13, v9, s0
	global_load_b64 v[12:13], v[10:11], off
	s_waitcnt vmcnt(0)
	v_fma_f64 v[5:6], v[3:4], v[12:13], v[5:6]
	global_store_b64 v[10:11], v[5:6], off
	s_branch .LBB1_6
.LBB1_16:
	s_nop 0
	s_sendmsg sendmsg(MSG_DEALLOC_VGPRS)
	s_endpgm
	.section	.rodata,"a",@progbits
	.p2align	6, 0x0
	.amdhsa_kernel _ZN9rocsparseL13gemmit_kernelILj256EdEEviiNS_24const_host_device_scalarIT0_EEPKS2_iPKiS7_S5_S3_PS2_i21rocsparse_index_base_b
		.amdhsa_group_segment_fixed_size 0
		.amdhsa_private_segment_fixed_size 0
		.amdhsa_kernarg_size 84
		.amdhsa_user_sgpr_count 14
		.amdhsa_user_sgpr_dispatch_ptr 0
		.amdhsa_user_sgpr_queue_ptr 0
		.amdhsa_user_sgpr_kernarg_segment_ptr 1
		.amdhsa_user_sgpr_dispatch_id 0
		.amdhsa_user_sgpr_private_segment_size 0
		.amdhsa_wavefront_size32 1
		.amdhsa_uses_dynamic_stack 0
		.amdhsa_enable_private_segment 0
		.amdhsa_system_sgpr_workgroup_id_x 1
		.amdhsa_system_sgpr_workgroup_id_y 1
		.amdhsa_system_sgpr_workgroup_id_z 0
		.amdhsa_system_sgpr_workgroup_info 0
		.amdhsa_system_vgpr_workitem_id 0
		.amdhsa_next_free_vgpr 14
		.amdhsa_next_free_sgpr 24
		.amdhsa_reserve_vcc 1
		.amdhsa_float_round_mode_32 0
		.amdhsa_float_round_mode_16_64 0
		.amdhsa_float_denorm_mode_32 3
		.amdhsa_float_denorm_mode_16_64 3
		.amdhsa_dx10_clamp 1
		.amdhsa_ieee_mode 1
		.amdhsa_fp16_overflow 0
		.amdhsa_workgroup_processor_mode 1
		.amdhsa_memory_ordered 1
		.amdhsa_forward_progress 0
		.amdhsa_shared_vgpr_count 0
		.amdhsa_exception_fp_ieee_invalid_op 0
		.amdhsa_exception_fp_denorm_src 0
		.amdhsa_exception_fp_ieee_div_zero 0
		.amdhsa_exception_fp_ieee_overflow 0
		.amdhsa_exception_fp_ieee_underflow 0
		.amdhsa_exception_fp_ieee_inexact 0
		.amdhsa_exception_int_div_zero 0
	.end_amdhsa_kernel
	.section	.text._ZN9rocsparseL13gemmit_kernelILj256EdEEviiNS_24const_host_device_scalarIT0_EEPKS2_iPKiS7_S5_S3_PS2_i21rocsparse_index_base_b,"axG",@progbits,_ZN9rocsparseL13gemmit_kernelILj256EdEEviiNS_24const_host_device_scalarIT0_EEPKS2_iPKiS7_S5_S3_PS2_i21rocsparse_index_base_b,comdat
.Lfunc_end1:
	.size	_ZN9rocsparseL13gemmit_kernelILj256EdEEviiNS_24const_host_device_scalarIT0_EEPKS2_iPKiS7_S5_S3_PS2_i21rocsparse_index_base_b, .Lfunc_end1-_ZN9rocsparseL13gemmit_kernelILj256EdEEviiNS_24const_host_device_scalarIT0_EEPKS2_iPKiS7_S5_S3_PS2_i21rocsparse_index_base_b
                                        ; -- End function
	.section	.AMDGPU.csdata,"",@progbits
; Kernel info:
; codeLenInByte = 664
; NumSgprs: 26
; NumVgprs: 14
; ScratchSize: 0
; MemoryBound: 0
; FloatMode: 240
; IeeeMode: 1
; LDSByteSize: 0 bytes/workgroup (compile time only)
; SGPRBlocks: 3
; VGPRBlocks: 1
; NumSGPRsForWavesPerEU: 26
; NumVGPRsForWavesPerEU: 14
; Occupancy: 16
; WaveLimiterHint : 1
; COMPUTE_PGM_RSRC2:SCRATCH_EN: 0
; COMPUTE_PGM_RSRC2:USER_SGPR: 14
; COMPUTE_PGM_RSRC2:TRAP_HANDLER: 0
; COMPUTE_PGM_RSRC2:TGID_X_EN: 1
; COMPUTE_PGM_RSRC2:TGID_Y_EN: 1
; COMPUTE_PGM_RSRC2:TGID_Z_EN: 0
; COMPUTE_PGM_RSRC2:TIDIG_COMP_CNT: 0
	.section	.text._ZN9rocsparseL13gemmit_kernelILj256E21rocsparse_complex_numIfEEEviiNS_24const_host_device_scalarIT0_EEPKS4_iPKiS9_S7_S5_PS4_i21rocsparse_index_base_b,"axG",@progbits,_ZN9rocsparseL13gemmit_kernelILj256E21rocsparse_complex_numIfEEEviiNS_24const_host_device_scalarIT0_EEPKS4_iPKiS9_S7_S5_PS4_i21rocsparse_index_base_b,comdat
	.globl	_ZN9rocsparseL13gemmit_kernelILj256E21rocsparse_complex_numIfEEEviiNS_24const_host_device_scalarIT0_EEPKS4_iPKiS9_S7_S5_PS4_i21rocsparse_index_base_b ; -- Begin function _ZN9rocsparseL13gemmit_kernelILj256E21rocsparse_complex_numIfEEEviiNS_24const_host_device_scalarIT0_EEPKS4_iPKiS9_S7_S5_PS4_i21rocsparse_index_base_b
	.p2align	8
	.type	_ZN9rocsparseL13gemmit_kernelILj256E21rocsparse_complex_numIfEEEviiNS_24const_host_device_scalarIT0_EEPKS4_iPKiS9_S7_S5_PS4_i21rocsparse_index_base_b,@function
_ZN9rocsparseL13gemmit_kernelILj256E21rocsparse_complex_numIfEEEviiNS_24const_host_device_scalarIT0_EEPKS4_iPKiS9_S7_S5_PS4_i21rocsparse_index_base_b: ; @_ZN9rocsparseL13gemmit_kernelILj256E21rocsparse_complex_numIfEEEviiNS_24const_host_device_scalarIT0_EEPKS4_iPKiS9_S7_S5_PS4_i21rocsparse_index_base_b
; %bb.0:
	s_clause 0x2
	s_load_b128 s[4:7], s[0:1], 0x48
	s_load_b64 s[2:3], s[0:1], 0x8
	s_load_b64 s[12:13], s[0:1], 0x38
	s_waitcnt lgkmcnt(0)
	s_bitcmp1_b32 s6, 0
	s_mov_b32 s20, s2
	s_cselect_b32 s7, -1, 0
	s_delay_alu instid0(SALU_CYCLE_1)
	s_xor_b32 s6, s7, -1
	s_and_b32 vcc_lo, exec_lo, s7
	s_cbranch_vccz .LBB2_17
; %bb.1:
	v_cndmask_b32_e64 v1, 0, 1, s6
	s_and_not1_b32 vcc_lo, exec_lo, s6
	s_cbranch_vccz .LBB2_18
.LBB2_2:
	s_delay_alu instid0(VALU_DEP_1)
	v_cmp_ne_u32_e32 vcc_lo, 1, v1
	s_mov_b32 s2, s12
	s_cbranch_vccz .LBB2_19
.LBB2_3:
	v_cmp_ne_u32_e32 vcc_lo, 1, v1
	s_cbranch_vccnz .LBB2_5
.LBB2_4:
	s_load_b32 s13, s[12:13], 0x4
.LBB2_5:
	s_load_b64 s[6:7], s[0:1], 0x0
	v_lshl_or_b32 v0, s14, 8, v0
	s_waitcnt lgkmcnt(0)
	s_delay_alu instid0(VALU_DEP_1) | instskip(SKIP_3) | instid1(SALU_CYCLE_1)
	v_cmp_gt_i32_e32 vcc_lo, s6, v0
	s_cmp_gt_i32 s7, 0
	s_mov_b32 s6, 0
	s_cselect_b32 s8, -1, 0
	s_and_b32 s8, vcc_lo, s8
	s_delay_alu instid0(SALU_CYCLE_1)
	s_and_saveexec_b32 s9, s8
	s_cbranch_execz .LBB2_16
; %bb.6:
	s_clause 0x2
	s_load_b64 s[16:17], s[0:1], 0x10
	s_load_b64 s[18:19], s[0:1], 0x40
	;; [unrolled: 1-line block ×3, first 2 shown]
	v_ashrrev_i32_e32 v1, 31, v0
	s_clause 0x1
	s_load_b128 s[8:11], s[0:1], 0x20
	s_load_b32 s12, s[0:1], 0x18
	v_cmp_eq_f32_e64 s0, s2, 0
	v_cmp_eq_f32_e64 s1, s13, 0
	v_lshlrev_b64 v[0:1], 3, v[0:1]
	s_delay_alu instid0(VALU_DEP_2) | instskip(SKIP_1) | instid1(VALU_DEP_1)
	s_and_b32 s14, s0, s1
	s_waitcnt lgkmcnt(0)
	v_add_co_u32 v2, vcc_lo, s16, v0
	s_delay_alu instid0(VALU_DEP_2)
	v_add_co_ci_u32_e32 v3, vcc_lo, s17, v1, vcc_lo
	v_add_co_u32 v4, vcc_lo, s18, v0
	v_add_co_ci_u32_e32 v5, vcc_lo, s19, v1, vcc_lo
	s_add_u32 s21, s22, 4
	s_addc_u32 s22, s23, 0
	s_branch .LBB2_8
.LBB2_7:                                ;   in Loop: Header=BB2_8 Depth=1
	s_add_i32 s6, s6, 0xffff
	s_delay_alu instid0(SALU_CYCLE_1)
	s_cmp_lt_i32 s6, s7
	s_cbranch_scc0 .LBB2_16
.LBB2_8:                                ; =>This Loop Header: Depth=1
                                        ;     Child Loop BB2_11 Depth 2
	s_add_i32 s0, s6, s15
	s_delay_alu instid0(SALU_CYCLE_1)
	s_cmp_ge_i32 s0, s7
	s_cbranch_scc1 .LBB2_7
; %bb.9:                                ;   in Loop: Header=BB2_8 Depth=1
	s_ashr_i32 s1, s0, 31
	v_dual_mov_b32 v1, 0 :: v_dual_mov_b32 v6, 0
	s_lshl_b64 s[16:17], s[0:1], 2
	s_delay_alu instid0(SALU_CYCLE_1)
	s_add_u32 s16, s8, s16
	s_addc_u32 s17, s9, s17
	s_load_b64 s[18:19], s[16:17], 0x0
	s_waitcnt lgkmcnt(0)
	s_cmp_ge_i32 s18, s19
	s_cbranch_scc1 .LBB2_12
; %bb.10:                               ;   in Loop: Header=BB2_8 Depth=1
	s_sub_i32 s16, s18, s5
	s_sub_i32 s1, s19, s5
	s_ashr_i32 s17, s16, 31
	v_dual_mov_b32 v1, 0 :: v_dual_mov_b32 v6, 0
	s_lshl_b64 s[18:19], s[16:17], 2
	s_delay_alu instid0(SALU_CYCLE_1) | instskip(SKIP_2) | instid1(SALU_CYCLE_1)
	s_add_u32 s18, s10, s18
	s_addc_u32 s19, s11, s19
	s_lshl_b64 s[24:25], s[16:17], 3
	s_add_u32 s17, s21, s24
	s_addc_u32 s23, s22, s25
	.p2align	6
.LBB2_11:                               ;   Parent Loop BB2_8 Depth=1
                                        ; =>  This Inner Loop Header: Depth=2
	s_load_b32 s24, s[18:19], 0x0
	s_waitcnt lgkmcnt(0)
	s_sub_i32 s25, s24, s5
	s_add_u32 s24, s17, -4
	s_mul_hi_i32 s27, s25, s12
	s_mul_i32 s26, s25, s12
	s_addc_u32 s25, s23, -1
	s_lshl_b64 s[26:27], s[26:27], 3
	s_load_b64 s[24:25], s[24:25], 0x0
	v_add_co_u32 v7, vcc_lo, v2, s26
	v_add_co_ci_u32_e32 v8, vcc_lo, s27, v3, vcc_lo
	s_add_i32 s16, s16, 1
	s_add_u32 s18, s18, 4
	s_addc_u32 s19, s19, 0
	global_load_b64 v[7:8], v[7:8], off
	s_add_u32 s17, s17, 8
	s_addc_u32 s23, s23, 0
	s_cmp_ge_i32 s16, s1
	s_waitcnt vmcnt(0) lgkmcnt(0)
	v_dual_fmac_f32 v6, s24, v7 :: v_dual_fmac_f32 v1, s24, v8
	s_delay_alu instid0(VALU_DEP_1) | instskip(NEXT) | instid1(VALU_DEP_2)
	v_fma_f32 v6, -v8, s25, v6
	v_fmac_f32_e32 v1, s25, v7
	s_cbranch_scc0 .LBB2_11
.LBB2_12:                               ;   in Loop: Header=BB2_8 Depth=1
	s_delay_alu instid0(VALU_DEP_1)
	v_mul_f32_e64 v0, v1, -s3
	v_mul_f32_e32 v1, s20, v1
	s_mov_b32 s16, -1
	s_and_b32 vcc_lo, exec_lo, s14
	s_mul_hi_i32 s1, s0, s4
	v_fmac_f32_e32 v0, s20, v6
	v_fmac_f32_e32 v1, s3, v6
	s_mul_i32 s0, s0, s4
	s_cbranch_vccz .LBB2_14
; %bb.13:                               ;   in Loop: Header=BB2_8 Depth=1
	s_lshl_b64 s[16:17], s[0:1], 3
	s_delay_alu instid0(SALU_CYCLE_1)
	v_add_co_u32 v6, vcc_lo, v4, s16
	v_add_co_ci_u32_e32 v7, vcc_lo, s17, v5, vcc_lo
	s_mov_b32 s16, 0
	global_store_b64 v[6:7], v[0:1], off
.LBB2_14:                               ;   in Loop: Header=BB2_8 Depth=1
	s_and_not1_b32 vcc_lo, exec_lo, s16
	s_cbranch_vccnz .LBB2_7
; %bb.15:                               ;   in Loop: Header=BB2_8 Depth=1
	s_lshl_b64 s[0:1], s[0:1], 3
	s_delay_alu instid0(SALU_CYCLE_1) | instskip(SKIP_4) | instid1(VALU_DEP_1)
	v_add_co_u32 v6, vcc_lo, v4, s0
	v_add_co_ci_u32_e32 v7, vcc_lo, s1, v5, vcc_lo
	global_load_b64 v[8:9], v[6:7], off
	s_waitcnt vmcnt(0)
	v_fmac_f32_e32 v1, s13, v8
	v_dual_fmac_f32 v0, s2, v8 :: v_dual_fmac_f32 v1, s2, v9
	s_delay_alu instid0(VALU_DEP_1)
	v_fma_f32 v0, -s13, v9, v0
	global_store_b64 v[6:7], v[0:1], off
	s_branch .LBB2_7
.LBB2_16:
	s_nop 0
	s_sendmsg sendmsg(MSG_DEALLOC_VGPRS)
	s_endpgm
.LBB2_17:
	s_load_b32 s20, s[2:3], 0x0
	v_cndmask_b32_e64 v1, 0, 1, s6
	s_and_not1_b32 vcc_lo, exec_lo, s6
	s_cbranch_vccnz .LBB2_2
.LBB2_18:
	s_load_b32 s3, s[2:3], 0x4
	s_delay_alu instid0(VALU_DEP_1)
	v_cmp_ne_u32_e32 vcc_lo, 1, v1
	s_mov_b32 s2, s12
	s_cbranch_vccnz .LBB2_3
.LBB2_19:
	s_load_b32 s2, s[12:13], 0x0
	v_cmp_ne_u32_e32 vcc_lo, 1, v1
	s_cbranch_vccz .LBB2_4
	s_branch .LBB2_5
	.section	.rodata,"a",@progbits
	.p2align	6, 0x0
	.amdhsa_kernel _ZN9rocsparseL13gemmit_kernelILj256E21rocsparse_complex_numIfEEEviiNS_24const_host_device_scalarIT0_EEPKS4_iPKiS9_S7_S5_PS4_i21rocsparse_index_base_b
		.amdhsa_group_segment_fixed_size 0
		.amdhsa_private_segment_fixed_size 0
		.amdhsa_kernarg_size 84
		.amdhsa_user_sgpr_count 14
		.amdhsa_user_sgpr_dispatch_ptr 0
		.amdhsa_user_sgpr_queue_ptr 0
		.amdhsa_user_sgpr_kernarg_segment_ptr 1
		.amdhsa_user_sgpr_dispatch_id 0
		.amdhsa_user_sgpr_private_segment_size 0
		.amdhsa_wavefront_size32 1
		.amdhsa_uses_dynamic_stack 0
		.amdhsa_enable_private_segment 0
		.amdhsa_system_sgpr_workgroup_id_x 1
		.amdhsa_system_sgpr_workgroup_id_y 1
		.amdhsa_system_sgpr_workgroup_id_z 0
		.amdhsa_system_sgpr_workgroup_info 0
		.amdhsa_system_vgpr_workitem_id 0
		.amdhsa_next_free_vgpr 10
		.amdhsa_next_free_sgpr 28
		.amdhsa_reserve_vcc 1
		.amdhsa_float_round_mode_32 0
		.amdhsa_float_round_mode_16_64 0
		.amdhsa_float_denorm_mode_32 3
		.amdhsa_float_denorm_mode_16_64 3
		.amdhsa_dx10_clamp 1
		.amdhsa_ieee_mode 1
		.amdhsa_fp16_overflow 0
		.amdhsa_workgroup_processor_mode 1
		.amdhsa_memory_ordered 1
		.amdhsa_forward_progress 0
		.amdhsa_shared_vgpr_count 0
		.amdhsa_exception_fp_ieee_invalid_op 0
		.amdhsa_exception_fp_denorm_src 0
		.amdhsa_exception_fp_ieee_div_zero 0
		.amdhsa_exception_fp_ieee_overflow 0
		.amdhsa_exception_fp_ieee_underflow 0
		.amdhsa_exception_fp_ieee_inexact 0
		.amdhsa_exception_int_div_zero 0
	.end_amdhsa_kernel
	.section	.text._ZN9rocsparseL13gemmit_kernelILj256E21rocsparse_complex_numIfEEEviiNS_24const_host_device_scalarIT0_EEPKS4_iPKiS9_S7_S5_PS4_i21rocsparse_index_base_b,"axG",@progbits,_ZN9rocsparseL13gemmit_kernelILj256E21rocsparse_complex_numIfEEEviiNS_24const_host_device_scalarIT0_EEPKS4_iPKiS9_S7_S5_PS4_i21rocsparse_index_base_b,comdat
.Lfunc_end2:
	.size	_ZN9rocsparseL13gemmit_kernelILj256E21rocsparse_complex_numIfEEEviiNS_24const_host_device_scalarIT0_EEPKS4_iPKiS9_S7_S5_PS4_i21rocsparse_index_base_b, .Lfunc_end2-_ZN9rocsparseL13gemmit_kernelILj256E21rocsparse_complex_numIfEEEviiNS_24const_host_device_scalarIT0_EEPKS4_iPKiS9_S7_S5_PS4_i21rocsparse_index_base_b
                                        ; -- End function
	.section	.AMDGPU.csdata,"",@progbits
; Kernel info:
; codeLenInByte = 776
; NumSgprs: 30
; NumVgprs: 10
; ScratchSize: 0
; MemoryBound: 0
; FloatMode: 240
; IeeeMode: 1
; LDSByteSize: 0 bytes/workgroup (compile time only)
; SGPRBlocks: 3
; VGPRBlocks: 1
; NumSGPRsForWavesPerEU: 30
; NumVGPRsForWavesPerEU: 10
; Occupancy: 16
; WaveLimiterHint : 1
; COMPUTE_PGM_RSRC2:SCRATCH_EN: 0
; COMPUTE_PGM_RSRC2:USER_SGPR: 14
; COMPUTE_PGM_RSRC2:TRAP_HANDLER: 0
; COMPUTE_PGM_RSRC2:TGID_X_EN: 1
; COMPUTE_PGM_RSRC2:TGID_Y_EN: 1
; COMPUTE_PGM_RSRC2:TGID_Z_EN: 0
; COMPUTE_PGM_RSRC2:TIDIG_COMP_CNT: 0
	.section	.text._ZN9rocsparseL13gemmit_kernelILj256E21rocsparse_complex_numIdEEEviiNS_24const_host_device_scalarIT0_EEPKS4_iPKiS9_S7_S5_PS4_i21rocsparse_index_base_b,"axG",@progbits,_ZN9rocsparseL13gemmit_kernelILj256E21rocsparse_complex_numIdEEEviiNS_24const_host_device_scalarIT0_EEPKS4_iPKiS9_S7_S5_PS4_i21rocsparse_index_base_b,comdat
	.globl	_ZN9rocsparseL13gemmit_kernelILj256E21rocsparse_complex_numIdEEEviiNS_24const_host_device_scalarIT0_EEPKS4_iPKiS9_S7_S5_PS4_i21rocsparse_index_base_b ; -- Begin function _ZN9rocsparseL13gemmit_kernelILj256E21rocsparse_complex_numIdEEEviiNS_24const_host_device_scalarIT0_EEPKS4_iPKiS9_S7_S5_PS4_i21rocsparse_index_base_b
	.p2align	8
	.type	_ZN9rocsparseL13gemmit_kernelILj256E21rocsparse_complex_numIdEEEviiNS_24const_host_device_scalarIT0_EEPKS4_iPKiS9_S7_S5_PS4_i21rocsparse_index_base_b,@function
_ZN9rocsparseL13gemmit_kernelILj256E21rocsparse_complex_numIdEEEviiNS_24const_host_device_scalarIT0_EEPKS4_iPKiS9_S7_S5_PS4_i21rocsparse_index_base_b: ; @_ZN9rocsparseL13gemmit_kernelILj256E21rocsparse_complex_numIdEEEviiNS_24const_host_device_scalarIT0_EEPKS4_iPKiS9_S7_S5_PS4_i21rocsparse_index_base_b
; %bb.0:
	s_clause 0x1
	s_load_b128 s[4:7], s[2:3], 0x58
	s_load_b128 s[16:19], s[2:3], 0x8
	s_load_b64 s[12:13], s[0:1], 0x4
	s_mov_b64 s[0:1], src_shared_base
	v_and_b32_e32 v1, 0x3ff, v0
	s_load_b128 s[8:11], s[2:3], 0x40
	v_bfe_u32 v3, v0, 10, 10
	v_bfe_u32 v0, v0, 20, 10
	s_waitcnt lgkmcnt(0)
	s_bitcmp1_b32 s6, 0
	s_cselect_b32 s0, -1, 0
	s_delay_alu instid0(SALU_CYCLE_1)
	s_and_b32 vcc_lo, s0, exec_lo
	s_cselect_b32 s6, s1, s17
	s_lshr_b32 s7, s12, 16
	v_dual_mov_b32 v4, s8 :: v_dual_mov_b32 v5, s9
	s_mul_i32 s7, s7, s13
	v_mov_b32_e32 v7, s6
	v_mul_lo_u32 v2, s7, v1
	s_xor_b32 s6, s0, -1
	s_delay_alu instid0(VALU_DEP_1) | instskip(NEXT) | instid1(VALU_DEP_1)
	v_mad_u32_u24 v2, v3, s13, v2
	v_add_lshl_u32 v0, v2, v0, 3
	v_dual_mov_b32 v2, s16 :: v_dual_mov_b32 v3, s17
	s_delay_alu instid0(VALU_DEP_2)
	v_add_nc_u32_e32 v6, 0x800, v0
	ds_store_2addr_stride64_b64 v0, v[4:5], v[2:3] offset1:4
	v_cndmask_b32_e64 v6, s16, v6, s0
	flat_load_b64 v[4:5], v[6:7]
	v_dual_mov_b32 v6, s18 :: v_dual_mov_b32 v7, s19
	s_cbranch_vccnz .LBB3_2
; %bb.1:
	v_dual_mov_b32 v2, s16 :: v_dual_mov_b32 v3, s17
	flat_load_b64 v[6:7], v[2:3] offset:8
.LBB3_2:
	s_and_b32 s7, s0, exec_lo
	s_cselect_b32 s1, s1, s9
	v_cndmask_b32_e64 v2, s8, v0, s0
	v_dual_mov_b32 v3, s1 :: v_dual_mov_b32 v10, s10
	v_mov_b32_e32 v11, s11
	s_and_not1_b32 vcc_lo, exec_lo, s6
	flat_load_b64 v[8:9], v[2:3]
	s_cbranch_vccnz .LBB3_4
; %bb.3:
	v_dual_mov_b32 v2, s8 :: v_dual_mov_b32 v3, s9
	flat_load_b64 v[10:11], v[2:3] offset:8
.LBB3_4:
	s_load_b64 s[6:7], s[2:3], 0x0
	v_lshl_or_b32 v0, s14, 8, v1
	s_waitcnt lgkmcnt(0)
	s_delay_alu instid0(VALU_DEP_1) | instskip(SKIP_3) | instid1(SALU_CYCLE_1)
	v_cmp_gt_i32_e32 vcc_lo, s6, v0
	s_cmp_gt_i32 s7, 0
	s_mov_b32 s6, 0
	s_cselect_b32 s0, -1, 0
	s_and_b32 s0, vcc_lo, s0
	s_delay_alu instid0(SALU_CYCLE_1)
	s_and_saveexec_b32 s1, s0
	s_cbranch_execz .LBB3_16
; %bb.5:
	s_waitcnt vmcnt(0)
	v_cmp_eq_f64_e32 vcc_lo, 0, v[8:9]
	v_cmp_eq_f64_e64 s0, 0, v[10:11]
	s_clause 0x2
	s_load_b64 s[12:13], s[2:3], 0x18
	s_load_b64 s[16:17], s[2:3], 0x50
	;; [unrolled: 1-line block ×3, first 2 shown]
	v_ashrrev_i32_e32 v1, 31, v0
	s_clause 0x1
	s_load_b128 s[8:11], s[2:3], 0x28
	s_load_b32 s14, s[2:3], 0x20
	s_delay_alu instid0(VALU_DEP_1) | instskip(SKIP_1) | instid1(VALU_DEP_1)
	v_lshlrev_b64 v[0:1], 4, v[0:1]
	s_waitcnt lgkmcnt(0)
	v_add_co_u32 v12, s1, s12, v0
	s_delay_alu instid0(VALU_DEP_1) | instskip(SKIP_1) | instid1(VALU_DEP_1)
	v_add_co_ci_u32_e64 v13, s1, s13, v1, s1
	v_add_co_u32 v14, s1, s16, v0
	v_add_co_ci_u32_e64 v15, s1, s17, v1, s1
	s_and_b32 s16, vcc_lo, s0
	s_add_u32 s17, s18, 8
	s_addc_u32 s18, s19, 0
	s_branch .LBB3_8
.LBB3_6:                                ;   in Loop: Header=BB3_8 Depth=1
	s_or_b32 exec_lo, exec_lo, s2
.LBB3_7:                                ;   in Loop: Header=BB3_8 Depth=1
	s_add_i32 s6, s6, 0xffff
	s_delay_alu instid0(SALU_CYCLE_1)
	s_cmp_lt_i32 s6, s7
	s_cbranch_scc0 .LBB3_16
.LBB3_8:                                ; =>This Loop Header: Depth=1
                                        ;     Child Loop BB3_11 Depth 2
	s_add_i32 s0, s6, s15
	s_delay_alu instid0(SALU_CYCLE_1)
	s_cmp_ge_i32 s0, s7
	s_cbranch_scc1 .LBB3_7
; %bb.9:                                ;   in Loop: Header=BB3_8 Depth=1
	s_ashr_i32 s1, s0, 31
	v_mov_b32_e32 v0, 0
	s_lshl_b64 s[2:3], s[0:1], 2
	v_mov_b32_e32 v1, 0
	s_add_u32 s2, s8, s2
	s_addc_u32 s3, s9, s3
	s_load_b64 s[12:13], s[2:3], 0x0
	s_delay_alu instid0(VALU_DEP_1)
	v_dual_mov_b32 v3, v1 :: v_dual_mov_b32 v2, v0
	s_waitcnt lgkmcnt(0)
	s_cmp_ge_i32 s12, s13
	s_cbranch_scc1 .LBB3_12
; %bb.10:                               ;   in Loop: Header=BB3_8 Depth=1
	s_sub_i32 s2, s12, s5
	v_mov_b32_e32 v0, 0
	s_ashr_i32 s3, s2, 31
	v_mov_b32_e32 v1, 0
	s_lshl_b64 s[20:21], s[2:3], 2
	s_sub_i32 s1, s13, s5
	s_add_u32 s12, s10, s20
	s_addc_u32 s13, s11, s21
	s_lshl_b64 s[20:21], s[2:3], 4
	v_dual_mov_b32 v3, v1 :: v_dual_mov_b32 v2, v0
	s_add_u32 s3, s17, s20
	s_addc_u32 s19, s18, s21
	.p2align	6
.LBB3_11:                               ;   Parent Loop BB3_8 Depth=1
                                        ; =>  This Inner Loop Header: Depth=2
	s_load_b32 s20, s[12:13], 0x0
	s_waitcnt lgkmcnt(0)
	s_sub_i32 s21, s20, s5
	s_add_u32 s20, s3, -8
	s_mul_hi_i32 s23, s21, s14
	s_mul_i32 s22, s21, s14
	s_addc_u32 s21, s19, -1
	s_lshl_b64 s[22:23], s[22:23], 4
	s_add_i32 s2, s2, 1
	v_add_co_u32 v16, vcc_lo, v12, s22
	v_add_co_ci_u32_e32 v17, vcc_lo, s23, v13, vcc_lo
	s_load_b128 s[20:23], s[20:21], 0x0
	s_add_u32 s12, s12, 4
	s_addc_u32 s13, s13, 0
	global_load_b128 v[16:19], v[16:17], off
	s_add_u32 s3, s3, 16
	s_addc_u32 s19, s19, 0
	s_cmp_ge_i32 s2, s1
	s_waitcnt vmcnt(0) lgkmcnt(0)
	v_fma_f64 v[2:3], v[16:17], s[20:21], v[2:3]
	v_fma_f64 v[0:1], v[18:19], s[20:21], v[0:1]
	s_delay_alu instid0(VALU_DEP_2) | instskip(NEXT) | instid1(VALU_DEP_2)
	v_fma_f64 v[2:3], -v[18:19], s[22:23], v[2:3]
	v_fma_f64 v[0:1], v[16:17], s[22:23], v[0:1]
	s_cbranch_scc0 .LBB3_11
.LBB3_12:                               ;   in Loop: Header=BB3_8 Depth=1
	s_delay_alu instid0(VALU_DEP_1) | instskip(SKIP_3) | instid1(VALU_DEP_2)
	v_mul_f64 v[16:17], v[0:1], -v[6:7]
	v_mul_f64 v[18:19], v[4:5], v[0:1]
	s_mul_hi_i32 s1, s0, s4
	s_mul_i32 s0, s0, s4
	v_fma_f64 v[0:1], v[4:5], v[2:3], v[16:17]
	s_delay_alu instid0(VALU_DEP_2) | instskip(SKIP_1) | instid1(SALU_CYCLE_1)
	v_fma_f64 v[2:3], v[6:7], v[2:3], v[18:19]
	s_and_saveexec_b32 s2, s16
	s_xor_b32 s2, exec_lo, s2
	s_cbranch_execz .LBB3_14
; %bb.13:                               ;   in Loop: Header=BB3_8 Depth=1
	s_lshl_b64 s[12:13], s[0:1], 4
	s_delay_alu instid0(SALU_CYCLE_1)
	v_add_co_u32 v16, vcc_lo, v14, s12
	v_add_co_ci_u32_e32 v17, vcc_lo, s13, v15, vcc_lo
	global_store_b128 v[16:17], v[0:3], off
                                        ; implicit-def: $vgpr0_vgpr1
.LBB3_14:                               ;   in Loop: Header=BB3_8 Depth=1
	s_and_not1_saveexec_b32 s2, s2
	s_cbranch_execz .LBB3_6
; %bb.15:                               ;   in Loop: Header=BB3_8 Depth=1
	s_lshl_b64 s[0:1], s[0:1], 4
	s_delay_alu instid0(SALU_CYCLE_1)
	v_add_co_u32 v20, vcc_lo, v14, s0
	v_add_co_ci_u32_e32 v21, vcc_lo, s1, v15, vcc_lo
	global_load_b128 v[16:19], v[20:21], off
	s_waitcnt vmcnt(0)
	v_fma_f64 v[0:1], v[8:9], v[16:17], v[0:1]
	v_fma_f64 v[2:3], v[10:11], v[16:17], v[2:3]
	s_delay_alu instid0(VALU_DEP_2) | instskip(NEXT) | instid1(VALU_DEP_2)
	v_fma_f64 v[0:1], -v[10:11], v[18:19], v[0:1]
	v_fma_f64 v[2:3], v[8:9], v[18:19], v[2:3]
	global_store_b128 v[20:21], v[0:3], off
	s_branch .LBB3_6
.LBB3_16:
	s_nop 0
	s_sendmsg sendmsg(MSG_DEALLOC_VGPRS)
	s_endpgm
	.section	.rodata,"a",@progbits
	.p2align	6, 0x0
	.amdhsa_kernel _ZN9rocsparseL13gemmit_kernelILj256E21rocsparse_complex_numIdEEEviiNS_24const_host_device_scalarIT0_EEPKS4_iPKiS9_S7_S5_PS4_i21rocsparse_index_base_b
		.amdhsa_group_segment_fixed_size 4096
		.amdhsa_private_segment_fixed_size 0
		.amdhsa_kernarg_size 100
		.amdhsa_user_sgpr_count 14
		.amdhsa_user_sgpr_dispatch_ptr 1
		.amdhsa_user_sgpr_queue_ptr 0
		.amdhsa_user_sgpr_kernarg_segment_ptr 1
		.amdhsa_user_sgpr_dispatch_id 0
		.amdhsa_user_sgpr_private_segment_size 0
		.amdhsa_wavefront_size32 1
		.amdhsa_uses_dynamic_stack 0
		.amdhsa_enable_private_segment 0
		.amdhsa_system_sgpr_workgroup_id_x 1
		.amdhsa_system_sgpr_workgroup_id_y 1
		.amdhsa_system_sgpr_workgroup_id_z 0
		.amdhsa_system_sgpr_workgroup_info 0
		.amdhsa_system_vgpr_workitem_id 2
		.amdhsa_next_free_vgpr 22
		.amdhsa_next_free_sgpr 24
		.amdhsa_reserve_vcc 1
		.amdhsa_float_round_mode_32 0
		.amdhsa_float_round_mode_16_64 0
		.amdhsa_float_denorm_mode_32 3
		.amdhsa_float_denorm_mode_16_64 3
		.amdhsa_dx10_clamp 1
		.amdhsa_ieee_mode 1
		.amdhsa_fp16_overflow 0
		.amdhsa_workgroup_processor_mode 1
		.amdhsa_memory_ordered 1
		.amdhsa_forward_progress 0
		.amdhsa_shared_vgpr_count 0
		.amdhsa_exception_fp_ieee_invalid_op 0
		.amdhsa_exception_fp_denorm_src 0
		.amdhsa_exception_fp_ieee_div_zero 0
		.amdhsa_exception_fp_ieee_overflow 0
		.amdhsa_exception_fp_ieee_underflow 0
		.amdhsa_exception_fp_ieee_inexact 0
		.amdhsa_exception_int_div_zero 0
	.end_amdhsa_kernel
	.section	.text._ZN9rocsparseL13gemmit_kernelILj256E21rocsparse_complex_numIdEEEviiNS_24const_host_device_scalarIT0_EEPKS4_iPKiS9_S7_S5_PS4_i21rocsparse_index_base_b,"axG",@progbits,_ZN9rocsparseL13gemmit_kernelILj256E21rocsparse_complex_numIdEEEviiNS_24const_host_device_scalarIT0_EEPKS4_iPKiS9_S7_S5_PS4_i21rocsparse_index_base_b,comdat
.Lfunc_end3:
	.size	_ZN9rocsparseL13gemmit_kernelILj256E21rocsparse_complex_numIdEEEviiNS_24const_host_device_scalarIT0_EEPKS4_iPKiS9_S7_S5_PS4_i21rocsparse_index_base_b, .Lfunc_end3-_ZN9rocsparseL13gemmit_kernelILj256E21rocsparse_complex_numIdEEEviiNS_24const_host_device_scalarIT0_EEPKS4_iPKiS9_S7_S5_PS4_i21rocsparse_index_base_b
                                        ; -- End function
	.section	.AMDGPU.csdata,"",@progbits
; Kernel info:
; codeLenInByte = 932
; NumSgprs: 26
; NumVgprs: 22
; ScratchSize: 0
; MemoryBound: 0
; FloatMode: 240
; IeeeMode: 1
; LDSByteSize: 4096 bytes/workgroup (compile time only)
; SGPRBlocks: 3
; VGPRBlocks: 2
; NumSGPRsForWavesPerEU: 26
; NumVGPRsForWavesPerEU: 22
; Occupancy: 16
; WaveLimiterHint : 1
; COMPUTE_PGM_RSRC2:SCRATCH_EN: 0
; COMPUTE_PGM_RSRC2:USER_SGPR: 14
; COMPUTE_PGM_RSRC2:TRAP_HANDLER: 0
; COMPUTE_PGM_RSRC2:TGID_X_EN: 1
; COMPUTE_PGM_RSRC2:TGID_Y_EN: 1
; COMPUTE_PGM_RSRC2:TGID_Z_EN: 0
; COMPUTE_PGM_RSRC2:TIDIG_COMP_CNT: 2
	.text
	.p2alignl 7, 3214868480
	.fill 96, 4, 3214868480
	.type	__hip_cuid_4af502b4eefc5571,@object ; @__hip_cuid_4af502b4eefc5571
	.section	.bss,"aw",@nobits
	.globl	__hip_cuid_4af502b4eefc5571
__hip_cuid_4af502b4eefc5571:
	.byte	0                               ; 0x0
	.size	__hip_cuid_4af502b4eefc5571, 1

	.ident	"AMD clang version 19.0.0git (https://github.com/RadeonOpenCompute/llvm-project roc-6.4.0 25133 c7fe45cf4b819c5991fe208aaa96edf142730f1d)"
	.section	".note.GNU-stack","",@progbits
	.addrsig
	.addrsig_sym __hip_cuid_4af502b4eefc5571
	.amdgpu_metadata
---
amdhsa.kernels:
  - .args:
      - .offset:         0
        .size:           4
        .value_kind:     by_value
      - .offset:         4
        .size:           4
        .value_kind:     by_value
      - .offset:         8
        .size:           8
        .value_kind:     by_value
      - .actual_access:  read_only
        .address_space:  global
        .offset:         16
        .size:           8
        .value_kind:     global_buffer
      - .offset:         24
        .size:           4
        .value_kind:     by_value
      - .actual_access:  read_only
        .address_space:  global
        .offset:         32
        .size:           8
        .value_kind:     global_buffer
      - .actual_access:  read_only
        .address_space:  global
        .offset:         40
        .size:           8
        .value_kind:     global_buffer
      - .actual_access:  read_only
        .address_space:  global
        .offset:         48
        .size:           8
        .value_kind:     global_buffer
      - .offset:         56
        .size:           8
        .value_kind:     by_value
      - .address_space:  global
        .offset:         64
        .size:           8
        .value_kind:     global_buffer
      - .offset:         72
        .size:           4
        .value_kind:     by_value
      - .offset:         76
        .size:           4
        .value_kind:     by_value
      - .offset:         80
        .size:           1
        .value_kind:     by_value
    .group_segment_fixed_size: 0
    .kernarg_segment_align: 8
    .kernarg_segment_size: 84
    .language:       OpenCL C
    .language_version:
      - 2
      - 0
    .max_flat_workgroup_size: 256
    .name:           _ZN9rocsparseL13gemmit_kernelILj256EfEEviiNS_24const_host_device_scalarIT0_EEPKS2_iPKiS7_S5_S3_PS2_i21rocsparse_index_base_b
    .private_segment_fixed_size: 0
    .sgpr_count:     28
    .sgpr_spill_count: 0
    .symbol:         _ZN9rocsparseL13gemmit_kernelILj256EfEEviiNS_24const_host_device_scalarIT0_EEPKS2_iPKiS7_S5_S3_PS2_i21rocsparse_index_base_b.kd
    .uniform_work_group_size: 1
    .uses_dynamic_stack: false
    .vgpr_count:     8
    .vgpr_spill_count: 0
    .wavefront_size: 32
    .workgroup_processor_mode: 1
  - .args:
      - .offset:         0
        .size:           4
        .value_kind:     by_value
      - .offset:         4
        .size:           4
        .value_kind:     by_value
      - .offset:         8
        .size:           8
        .value_kind:     by_value
      - .actual_access:  read_only
        .address_space:  global
        .offset:         16
        .size:           8
        .value_kind:     global_buffer
      - .offset:         24
        .size:           4
        .value_kind:     by_value
      - .actual_access:  read_only
        .address_space:  global
        .offset:         32
        .size:           8
        .value_kind:     global_buffer
      - .actual_access:  read_only
        .address_space:  global
        .offset:         40
        .size:           8
        .value_kind:     global_buffer
      - .actual_access:  read_only
        .address_space:  global
        .offset:         48
        .size:           8
        .value_kind:     global_buffer
      - .offset:         56
        .size:           8
        .value_kind:     by_value
      - .address_space:  global
        .offset:         64
        .size:           8
        .value_kind:     global_buffer
      - .offset:         72
        .size:           4
        .value_kind:     by_value
      - .offset:         76
        .size:           4
        .value_kind:     by_value
      - .offset:         80
        .size:           1
        .value_kind:     by_value
    .group_segment_fixed_size: 0
    .kernarg_segment_align: 8
    .kernarg_segment_size: 84
    .language:       OpenCL C
    .language_version:
      - 2
      - 0
    .max_flat_workgroup_size: 256
    .name:           _ZN9rocsparseL13gemmit_kernelILj256EdEEviiNS_24const_host_device_scalarIT0_EEPKS2_iPKiS7_S5_S3_PS2_i21rocsparse_index_base_b
    .private_segment_fixed_size: 0
    .sgpr_count:     26
    .sgpr_spill_count: 0
    .symbol:         _ZN9rocsparseL13gemmit_kernelILj256EdEEviiNS_24const_host_device_scalarIT0_EEPKS2_iPKiS7_S5_S3_PS2_i21rocsparse_index_base_b.kd
    .uniform_work_group_size: 1
    .uses_dynamic_stack: false
    .vgpr_count:     14
    .vgpr_spill_count: 0
    .wavefront_size: 32
    .workgroup_processor_mode: 1
  - .args:
      - .offset:         0
        .size:           4
        .value_kind:     by_value
      - .offset:         4
        .size:           4
        .value_kind:     by_value
      - .offset:         8
        .size:           8
        .value_kind:     by_value
      - .actual_access:  read_only
        .address_space:  global
        .offset:         16
        .size:           8
        .value_kind:     global_buffer
      - .offset:         24
        .size:           4
        .value_kind:     by_value
      - .actual_access:  read_only
        .address_space:  global
        .offset:         32
        .size:           8
        .value_kind:     global_buffer
      - .actual_access:  read_only
        .address_space:  global
        .offset:         40
        .size:           8
        .value_kind:     global_buffer
      - .actual_access:  read_only
        .address_space:  global
        .offset:         48
        .size:           8
        .value_kind:     global_buffer
      - .offset:         56
        .size:           8
        .value_kind:     by_value
      - .address_space:  global
        .offset:         64
        .size:           8
        .value_kind:     global_buffer
      - .offset:         72
        .size:           4
        .value_kind:     by_value
      - .offset:         76
        .size:           4
        .value_kind:     by_value
      - .offset:         80
        .size:           1
        .value_kind:     by_value
    .group_segment_fixed_size: 0
    .kernarg_segment_align: 8
    .kernarg_segment_size: 84
    .language:       OpenCL C
    .language_version:
      - 2
      - 0
    .max_flat_workgroup_size: 256
    .name:           _ZN9rocsparseL13gemmit_kernelILj256E21rocsparse_complex_numIfEEEviiNS_24const_host_device_scalarIT0_EEPKS4_iPKiS9_S7_S5_PS4_i21rocsparse_index_base_b
    .private_segment_fixed_size: 0
    .sgpr_count:     30
    .sgpr_spill_count: 0
    .symbol:         _ZN9rocsparseL13gemmit_kernelILj256E21rocsparse_complex_numIfEEEviiNS_24const_host_device_scalarIT0_EEPKS4_iPKiS9_S7_S5_PS4_i21rocsparse_index_base_b.kd
    .uniform_work_group_size: 1
    .uses_dynamic_stack: false
    .vgpr_count:     10
    .vgpr_spill_count: 0
    .wavefront_size: 32
    .workgroup_processor_mode: 1
  - .args:
      - .offset:         0
        .size:           4
        .value_kind:     by_value
      - .offset:         4
        .size:           4
        .value_kind:     by_value
      - .offset:         8
        .size:           16
        .value_kind:     by_value
      - .actual_access:  read_only
        .address_space:  global
        .offset:         24
        .size:           8
        .value_kind:     global_buffer
      - .offset:         32
        .size:           4
        .value_kind:     by_value
      - .actual_access:  read_only
        .address_space:  global
        .offset:         40
        .size:           8
        .value_kind:     global_buffer
      - .actual_access:  read_only
        .address_space:  global
        .offset:         48
        .size:           8
        .value_kind:     global_buffer
      - .actual_access:  read_only
        .address_space:  global
        .offset:         56
        .size:           8
        .value_kind:     global_buffer
      - .offset:         64
        .size:           16
        .value_kind:     by_value
      - .address_space:  global
        .offset:         80
        .size:           8
        .value_kind:     global_buffer
      - .offset:         88
        .size:           4
        .value_kind:     by_value
      - .offset:         92
        .size:           4
        .value_kind:     by_value
      - .offset:         96
        .size:           1
        .value_kind:     by_value
    .group_segment_fixed_size: 4096
    .kernarg_segment_align: 8
    .kernarg_segment_size: 100
    .language:       OpenCL C
    .language_version:
      - 2
      - 0
    .max_flat_workgroup_size: 256
    .name:           _ZN9rocsparseL13gemmit_kernelILj256E21rocsparse_complex_numIdEEEviiNS_24const_host_device_scalarIT0_EEPKS4_iPKiS9_S7_S5_PS4_i21rocsparse_index_base_b
    .private_segment_fixed_size: 0
    .sgpr_count:     26
    .sgpr_spill_count: 0
    .symbol:         _ZN9rocsparseL13gemmit_kernelILj256E21rocsparse_complex_numIdEEEviiNS_24const_host_device_scalarIT0_EEPKS4_iPKiS9_S7_S5_PS4_i21rocsparse_index_base_b.kd
    .uniform_work_group_size: 1
    .uses_dynamic_stack: false
    .vgpr_count:     22
    .vgpr_spill_count: 0
    .wavefront_size: 32
    .workgroup_processor_mode: 1
amdhsa.target:   amdgcn-amd-amdhsa--gfx1100
amdhsa.version:
  - 1
  - 2
...

	.end_amdgpu_metadata
